;; amdgpu-corpus repo=ROCm/rocFFT kind=compiled arch=gfx950 opt=O3
	.text
	.amdgcn_target "amdgcn-amd-amdhsa--gfx950"
	.amdhsa_code_object_version 6
	.protected	fft_rtc_fwd_len200_factors_10_10_2_wgs_60_tpt_20_halfLds_sp_op_CI_CI_unitstride_sbrr_C2R_dirReg ; -- Begin function fft_rtc_fwd_len200_factors_10_10_2_wgs_60_tpt_20_halfLds_sp_op_CI_CI_unitstride_sbrr_C2R_dirReg
	.globl	fft_rtc_fwd_len200_factors_10_10_2_wgs_60_tpt_20_halfLds_sp_op_CI_CI_unitstride_sbrr_C2R_dirReg
	.p2align	8
	.type	fft_rtc_fwd_len200_factors_10_10_2_wgs_60_tpt_20_halfLds_sp_op_CI_CI_unitstride_sbrr_C2R_dirReg,@function
fft_rtc_fwd_len200_factors_10_10_2_wgs_60_tpt_20_halfLds_sp_op_CI_CI_unitstride_sbrr_C2R_dirReg: ; @fft_rtc_fwd_len200_factors_10_10_2_wgs_60_tpt_20_halfLds_sp_op_CI_CI_unitstride_sbrr_C2R_dirReg
; %bb.0:
	s_load_dwordx4 s[4:7], s[0:1], 0x58
	s_load_dwordx4 s[8:11], s[0:1], 0x0
	;; [unrolled: 1-line block ×3, first 2 shown]
	v_mul_u32_u24_e32 v1, 0xccd, v0
	v_lshrrev_b32_e32 v2, 16, v1
	v_mad_u64_u32 v[6:7], s[2:3], s2, 3, v[2:3]
	v_mov_b32_e32 v10, 0
	v_mov_b32_e32 v7, v10
	s_waitcnt lgkmcnt(0)
	v_cmp_lt_u64_e64 s[2:3], s[10:11], 2
	v_mov_b64_e32 v[8:9], 0
	s_and_b64 vcc, exec, s[2:3]
	v_mov_b64_e32 v[2:3], v[8:9]
	v_mov_b64_e32 v[4:5], v[6:7]
	s_cbranch_vccnz .LBB0_8
; %bb.1:
	s_load_dwordx2 s[2:3], s[0:1], 0x10
	s_add_u32 s16, s14, 8
	s_addc_u32 s17, s15, 0
	s_add_u32 s18, s12, 8
	s_addc_u32 s19, s13, 0
	s_waitcnt lgkmcnt(0)
	s_add_u32 s20, s2, 8
	v_mov_b64_e32 v[8:9], 0
	s_addc_u32 s21, s3, 0
	s_mov_b64 s[22:23], 1
	v_mov_b64_e32 v[2:3], v[8:9]
	v_mov_b64_e32 v[12:13], v[6:7]
.LBB0_2:                                ; =>This Inner Loop Header: Depth=1
	s_load_dwordx2 s[24:25], s[20:21], 0x0
                                        ; implicit-def: $vgpr4_vgpr5
	s_waitcnt lgkmcnt(0)
	v_or_b32_e32 v11, s25, v13
	v_cmp_ne_u64_e32 vcc, 0, v[10:11]
	s_and_saveexec_b64 s[2:3], vcc
	s_xor_b64 s[26:27], exec, s[2:3]
	s_cbranch_execz .LBB0_4
; %bb.3:                                ;   in Loop: Header=BB0_2 Depth=1
	v_cvt_f32_u32_e32 v1, s24
	v_cvt_f32_u32_e32 v4, s25
	s_sub_u32 s2, 0, s24
	s_subb_u32 s3, 0, s25
	v_fmac_f32_e32 v1, 0x4f800000, v4
	v_rcp_f32_e32 v1, v1
	s_nop 0
	v_mul_f32_e32 v1, 0x5f7ffffc, v1
	v_mul_f32_e32 v4, 0x2f800000, v1
	v_trunc_f32_e32 v4, v4
	v_fmac_f32_e32 v1, 0xcf800000, v4
	v_cvt_u32_f32_e32 v7, v4
	v_cvt_u32_f32_e32 v1, v1
	v_mul_lo_u32 v4, s2, v7
	v_mul_hi_u32 v11, s2, v1
	v_mul_lo_u32 v5, s3, v1
	v_add_u32_e32 v11, v11, v4
	v_mul_lo_u32 v16, s2, v1
	v_add_u32_e32 v11, v11, v5
	v_mul_hi_u32 v4, v1, v16
	v_mul_hi_u32 v15, v1, v11
	v_mul_lo_u32 v14, v1, v11
	v_mov_b32_e32 v5, v10
	v_lshl_add_u64 v[4:5], v[4:5], 0, v[14:15]
	v_mul_hi_u32 v15, v7, v16
	v_mul_lo_u32 v16, v7, v16
	v_add_co_u32_e32 v4, vcc, v4, v16
	v_mul_hi_u32 v14, v7, v11
	s_nop 0
	v_addc_co_u32_e32 v4, vcc, v5, v15, vcc
	v_mov_b32_e32 v5, v10
	s_nop 0
	v_addc_co_u32_e32 v15, vcc, 0, v14, vcc
	v_mul_lo_u32 v14, v7, v11
	v_lshl_add_u64 v[4:5], v[4:5], 0, v[14:15]
	v_add_co_u32_e32 v1, vcc, v1, v4
	v_mul_lo_u32 v14, s2, v1
	s_nop 0
	v_addc_co_u32_e32 v7, vcc, v7, v5, vcc
	v_mul_lo_u32 v4, s2, v7
	v_mul_hi_u32 v5, s2, v1
	v_add_u32_e32 v4, v5, v4
	v_mul_lo_u32 v5, s3, v1
	v_add_u32_e32 v11, v4, v5
	v_mul_hi_u32 v17, v7, v14
	v_mul_lo_u32 v18, v7, v14
	v_mul_hi_u32 v5, v1, v11
	v_mul_lo_u32 v4, v1, v11
	v_mul_hi_u32 v14, v1, v14
	v_mov_b32_e32 v15, v10
	v_lshl_add_u64 v[4:5], v[14:15], 0, v[4:5]
	v_add_co_u32_e32 v4, vcc, v4, v18
	v_mul_hi_u32 v16, v7, v11
	s_nop 0
	v_addc_co_u32_e32 v4, vcc, v5, v17, vcc
	v_mul_lo_u32 v14, v7, v11
	s_nop 0
	v_addc_co_u32_e32 v15, vcc, 0, v16, vcc
	v_mov_b32_e32 v5, v10
	v_lshl_add_u64 v[4:5], v[4:5], 0, v[14:15]
	v_add_co_u32_e32 v1, vcc, v1, v4
	v_mul_hi_u32 v14, v12, v1
	s_nop 0
	v_addc_co_u32_e32 v7, vcc, v7, v5, vcc
	v_mad_u64_u32 v[4:5], s[2:3], v12, v7, 0
	v_mov_b32_e32 v15, v10
	v_lshl_add_u64 v[4:5], v[14:15], 0, v[4:5]
	v_mad_u64_u32 v[16:17], s[2:3], v13, v1, 0
	v_add_co_u32_e32 v1, vcc, v4, v16
	v_mad_u64_u32 v[14:15], s[2:3], v13, v7, 0
	s_nop 0
	v_addc_co_u32_e32 v4, vcc, v5, v17, vcc
	v_mov_b32_e32 v5, v10
	s_nop 0
	v_addc_co_u32_e32 v15, vcc, 0, v15, vcc
	v_lshl_add_u64 v[4:5], v[4:5], 0, v[14:15]
	v_mul_lo_u32 v1, s25, v4
	v_mul_lo_u32 v7, s24, v5
	v_mad_u64_u32 v[14:15], s[2:3], s24, v4, 0
	v_add3_u32 v1, v15, v7, v1
	v_sub_u32_e32 v7, v13, v1
	v_mov_b32_e32 v11, s25
	v_sub_co_u32_e32 v18, vcc, v12, v14
	v_lshl_add_u64 v[16:17], v[4:5], 0, 1
	s_nop 0
	v_subb_co_u32_e64 v7, s[2:3], v7, v11, vcc
	v_subrev_co_u32_e64 v11, s[2:3], s24, v18
	v_subb_co_u32_e32 v1, vcc, v13, v1, vcc
	s_nop 0
	v_subbrev_co_u32_e64 v7, s[2:3], 0, v7, s[2:3]
	v_cmp_le_u32_e64 s[2:3], s25, v7
	v_cmp_le_u32_e32 vcc, s25, v1
	s_nop 0
	v_cndmask_b32_e64 v14, 0, -1, s[2:3]
	v_cmp_le_u32_e64 s[2:3], s24, v11
	s_nop 1
	v_cndmask_b32_e64 v11, 0, -1, s[2:3]
	v_cmp_eq_u32_e64 s[2:3], s25, v7
	s_nop 1
	v_cndmask_b32_e64 v7, v14, v11, s[2:3]
	v_lshl_add_u64 v[14:15], v[4:5], 0, 2
	v_cmp_ne_u32_e64 s[2:3], 0, v7
	v_cndmask_b32_e64 v11, 0, -1, vcc
	v_cmp_le_u32_e32 vcc, s24, v18
	v_cndmask_b32_e64 v7, v17, v15, s[2:3]
	s_nop 0
	v_cndmask_b32_e64 v15, 0, -1, vcc
	v_cmp_eq_u32_e32 vcc, s25, v1
	s_nop 1
	v_cndmask_b32_e32 v1, v11, v15, vcc
	v_cmp_ne_u32_e32 vcc, 0, v1
	v_cndmask_b32_e64 v1, v16, v14, s[2:3]
	s_nop 0
	v_cndmask_b32_e32 v5, v5, v7, vcc
	v_cndmask_b32_e32 v4, v4, v1, vcc
.LBB0_4:                                ;   in Loop: Header=BB0_2 Depth=1
	s_andn2_saveexec_b64 s[2:3], s[26:27]
	s_cbranch_execz .LBB0_6
; %bb.5:                                ;   in Loop: Header=BB0_2 Depth=1
	v_cvt_f32_u32_e32 v1, s24
	s_sub_i32 s26, 0, s24
	v_rcp_iflag_f32_e32 v1, v1
	s_nop 0
	v_mul_f32_e32 v1, 0x4f7ffffe, v1
	v_cvt_u32_f32_e32 v1, v1
	v_mul_lo_u32 v4, s26, v1
	v_mul_hi_u32 v4, v1, v4
	v_add_u32_e32 v1, v1, v4
	v_mul_hi_u32 v1, v12, v1
	v_mul_lo_u32 v4, v1, s24
	v_sub_u32_e32 v4, v12, v4
	v_add_u32_e32 v5, 1, v1
	v_subrev_u32_e32 v7, s24, v4
	v_cmp_le_u32_e32 vcc, s24, v4
	s_nop 1
	v_cndmask_b32_e32 v4, v4, v7, vcc
	v_cndmask_b32_e32 v1, v1, v5, vcc
	v_add_u32_e32 v5, 1, v1
	v_cmp_le_u32_e32 vcc, s24, v4
	s_nop 1
	v_cndmask_b32_e32 v4, v1, v5, vcc
	v_mov_b32_e32 v5, v10
.LBB0_6:                                ;   in Loop: Header=BB0_2 Depth=1
	s_or_b64 exec, exec, s[2:3]
	v_mad_u64_u32 v[14:15], s[2:3], v4, s24, 0
	s_load_dwordx2 s[2:3], s[18:19], 0x0
	s_add_u32 s22, s22, 1
	v_mul_lo_u32 v1, v5, s24
	v_mul_lo_u32 v7, v4, s25
	s_load_dwordx2 s[24:25], s[16:17], 0x0
	s_addc_u32 s23, s23, 0
	v_add3_u32 v1, v15, v7, v1
	v_sub_co_u32_e32 v7, vcc, v12, v14
	s_add_u32 s16, s16, 8
	s_nop 0
	v_subb_co_u32_e32 v1, vcc, v13, v1, vcc
	s_addc_u32 s17, s17, 0
	s_waitcnt lgkmcnt(0)
	v_mul_lo_u32 v11, s2, v1
	v_mul_lo_u32 v12, s3, v7
	v_mad_u64_u32 v[8:9], s[2:3], s2, v7, v[8:9]
	s_add_u32 s18, s18, 8
	v_add3_u32 v9, v12, v9, v11
	s_addc_u32 s19, s19, 0
	v_mov_b64_e32 v[12:13], s[10:11]
	v_mul_lo_u32 v1, s24, v1
	v_mul_lo_u32 v11, s25, v7
	v_mad_u64_u32 v[2:3], s[2:3], s24, v7, v[2:3]
	s_add_u32 s20, s20, 8
	v_cmp_ge_u64_e32 vcc, s[22:23], v[12:13]
	v_add3_u32 v3, v11, v3, v1
	s_addc_u32 s21, s21, 0
	s_cbranch_vccnz .LBB0_8
; %bb.7:                                ;   in Loop: Header=BB0_2 Depth=1
	v_mov_b64_e32 v[12:13], v[4:5]
	s_branch .LBB0_2
.LBB0_8:
	s_load_dwordx2 s[0:1], s[0:1], 0x28
	s_lshl_b64 s[16:17], s[10:11], 3
	s_mov_b32 s10, 0xaaaaaaab
	v_mul_hi_u32 v1, v6, s10
	v_lshrrev_b32_e32 v1, 1, v1
	s_add_u32 s2, s14, s16
	v_lshl_add_u32 v1, v1, 1, v1
	s_addc_u32 s3, s15, s17
	v_sub_u32_e32 v1, v6, v1
	s_waitcnt lgkmcnt(0)
	v_cmp_gt_u64_e32 vcc, s[0:1], v[4:5]
	v_cmp_le_u64_e64 s[0:1], s[0:1], v[4:5]
                                        ; implicit-def: $vgpr6
                                        ; implicit-def: $vgpr12_vgpr13
	s_and_saveexec_b64 s[10:11], s[0:1]
	s_xor_b64 s[0:1], exec, s[10:11]
; %bb.9:
	s_mov_b32 s10, 0xccccccd
	v_mul_hi_u32 v6, v0, s10
	v_mul_u32_u24_e32 v6, 20, v6
	v_sub_u32_e32 v6, v0, v6
	v_mov_b32_e32 v7, 0
	v_mov_b64_e32 v[12:13], v[6:7]
                                        ; implicit-def: $vgpr0
                                        ; implicit-def: $vgpr8_vgpr9
; %bb.10:
	s_or_saveexec_b64 s[10:11], s[0:1]
	s_load_dwordx2 s[2:3], s[2:3], 0x0
	v_mul_u32_u24_e32 v10, 0xc9, v1
	v_lshlrev_b32_e32 v16, 3, v10
	s_xor_b64 exec, exec, s[10:11]
	s_cbranch_execz .LBB0_14
; %bb.11:
	s_add_u32 s0, s12, s16
	s_addc_u32 s1, s13, s17
	s_load_dwordx2 s[0:1], s[0:1], 0x0
	s_mov_b32 s12, 0xccccccd
	v_mov_b32_e32 v7, 0
	s_waitcnt lgkmcnt(0)
	v_mul_lo_u32 v1, s1, v4
	v_mul_lo_u32 v6, s0, v5
	v_mad_u64_u32 v[12:13], s[0:1], s0, v4, 0
	v_add3_u32 v13, v13, v6, v1
	v_mul_hi_u32 v1, v0, s12
	v_mul_u32_u24_e32 v1, 20, v1
	v_sub_u32_e32 v6, v0, v1
	v_lshl_add_u64 v[0:1], v[12:13], 3, s[4:5]
	v_lshl_add_u64 v[0:1], v[8:9], 3, v[0:1]
	v_lshlrev_b32_e32 v8, 3, v6
	v_mov_b32_e32 v9, v7
	v_lshl_add_u64 v[12:13], v[0:1], 0, v[8:9]
	global_load_dwordx2 v[14:15], v[12:13], off
	global_load_dwordx2 v[18:19], v[12:13], off offset:160
	global_load_dwordx2 v[20:21], v[12:13], off offset:320
	;; [unrolled: 1-line block ×9, first 2 shown]
	v_cmp_eq_u32_e64 s[0:1], 19, v6
	v_add3_u32 v8, 0, v16, v8
	v_mov_b64_e32 v[12:13], v[6:7]
	s_waitcnt vmcnt(8)
	ds_write2_b64 v8, v[14:15], v[18:19] offset1:20
	s_waitcnt vmcnt(6)
	ds_write2_b64 v8, v[20:21], v[22:23] offset0:40 offset1:60
	s_waitcnt vmcnt(4)
	ds_write2_b64 v8, v[24:25], v[26:27] offset0:80 offset1:100
	;; [unrolled: 2-line block ×4, first 2 shown]
	s_and_saveexec_b64 s[4:5], s[0:1]
	s_cbranch_execz .LBB0_13
; %bb.12:
	global_load_dwordx2 v[0:1], v[0:1], off offset:1600
	v_mov_b32_e32 v6, 19
	v_mov_b64_e32 v[12:13], 19
	s_waitcnt vmcnt(0)
	ds_write_b64 v8, v[0:1] offset:1448
.LBB0_13:
	s_or_b64 exec, exec, s[4:5]
.LBB0_14:
	s_or_b64 exec, exec, s[10:11]
	v_lshl_add_u32 v14, v10, 3, 0
	v_lshlrev_b32_e32 v18, 3, v6
	v_add_u32_e32 v15, v14, v18
	s_waitcnt lgkmcnt(0)
	; wave barrier
	s_waitcnt lgkmcnt(0)
	v_sub_u32_e32 v17, v14, v18
	ds_read_b32 v0, v15
	ds_read_b32 v1, v17 offset:1600
	v_cmp_ne_u32_e64 s[0:1], 0, v6
	s_waitcnt lgkmcnt(0)
	v_add_f32_e32 v10, v1, v0
	v_sub_f32_e32 v11, v0, v1
	v_lshl_add_u64 v[0:1], v[12:13], 3, s[8:9]
	s_and_saveexec_b64 s[4:5], s[0:1]
	s_xor_b64 s[0:1], exec, s[4:5]
	s_cbranch_execz .LBB0_16
; %bb.15:
	global_load_dwordx2 v[8:9], v[0:1], off offset:1520
	ds_read_b32 v7, v17 offset:1604
	ds_read_b32 v19, v15 offset:4
	v_mov_b32_e32 v12, v11
	v_mov_b32_e32 v20, v10
	;; [unrolled: 1-line block ×3, first 2 shown]
	s_waitcnt lgkmcnt(0)
	v_add_f32_e32 v13, v7, v19
	v_sub_f32_e32 v21, v19, v7
	v_mov_b32_e32 v22, v13
	s_waitcnt vmcnt(0)
	v_pk_mul_f32 v[24:25], v[12:13], v[8:9] op_sel:[0,1]
	v_pk_fma_f32 v[12:13], v[12:13], v[8:9], v[20:21] op_sel:[0,1,0]
	v_mov_b32_e32 v11, v25
	v_mov_b32_e32 v25, v21
	v_pk_fma_f32 v[26:27], v[8:9], v[22:23], v[12:13] neg_lo:[1,0,0] neg_hi:[1,0,0]
	v_pk_fma_f32 v[12:13], v[8:9], v[22:23], v[12:13] op_sel_hi:[0,1,1]
	v_pk_add_f32 v[10:11], v[10:11], v[24:25] neg_lo:[0,1] neg_hi:[0,1]
	v_mov_b32_e32 v27, v13
	v_pk_fma_f32 v[8:9], v[8:9], v[22:23], v[10:11] op_sel_hi:[0,1,1]
	ds_write_b64 v17, v[8:9] offset:1600
	v_mov_b64_e32 v[10:11], v[26:27]
.LBB0_16:
	s_andn2_saveexec_b64 s[0:1], s[0:1]
	s_cbranch_execz .LBB0_18
; %bb.17:
	ds_read_b64 v[8:9], v14 offset:800
	s_mov_b32 s4, 2.0
	s_mov_b32 s5, -2.0
	s_waitcnt lgkmcnt(0)
	v_pk_mul_f32 v[8:9], v[8:9], s[4:5]
	ds_write_b64 v14, v[8:9] offset:800
.LBB0_18:
	s_or_b64 exec, exec, s[0:1]
	s_add_u32 s0, s8, 0x5f0
	v_mov_b32_e32 v7, 0
	s_addc_u32 s1, s9, 0
	v_lshlrev_b64 v[8:9], 3, v[6:7]
	v_lshl_add_u64 v[12:13], s[0:1], 0, v[8:9]
	global_load_dwordx2 v[20:21], v[12:13], off offset:160
	global_load_dwordx2 v[22:23], v[12:13], off offset:320
	;; [unrolled: 1-line block ×3, first 2 shown]
	ds_write_b64 v15, v[10:11]
	ds_read_b64 v[10:11], v15 offset:160
	ds_read_b64 v[26:27], v17 offset:1440
	global_load_dwordx2 v[12:13], v[12:13], off offset:640
	s_mov_b32 s4, 0x3f737871
	s_mov_b32 s10, 0x3f167918
	s_mov_b32 s12, 0x3e9e377a
	s_waitcnt lgkmcnt(0)
	v_pk_add_f32 v[28:29], v[10:11], v[26:27] neg_lo:[0,1] neg_hi:[0,1]
	v_pk_add_f32 v[10:11], v[10:11], v[26:27]
	v_mov_b32_e32 v26, v28
	v_mov_b32_e32 v27, v11
	;; [unrolled: 1-line block ×6, first 2 shown]
	s_mov_b32 s14, 0xbf737871
	s_mov_b32 s15, s4
	s_movk_i32 s0, 0x48
	s_mov_b32 s18, 0x3f4f1bbd
	s_mov_b32 s16, 0xbf167918
	;; [unrolled: 1-line block ×3, first 2 shown]
	v_lshl_add_u64 v[8:9], s[8:9], 0, v[8:9]
	s_waitcnt vmcnt(3)
	v_pk_mul_f32 v[34:35], v[26:27], v[20:21] op_sel:[0,1]
	v_pk_fma_f32 v[26:27], v[26:27], v[20:21], v[30:31] op_sel:[0,1,0]
	v_mov_b32_e32 v11, v35
	v_mov_b32_e32 v35, v29
	v_pk_fma_f32 v[30:31], v[20:21], v[32:33], v[26:27] neg_lo:[1,0,0] neg_hi:[1,0,0]
	v_pk_fma_f32 v[26:27], v[20:21], v[32:33], v[26:27] op_sel_hi:[0,1,1]
	v_pk_add_f32 v[10:11], v[10:11], v[34:35] neg_lo:[0,1] neg_hi:[0,1]
	v_mov_b32_e32 v31, v27
	v_pk_fma_f32 v[10:11], v[20:21], v[32:33], v[10:11] op_sel_hi:[0,1,1]
	ds_write_b64 v15, v[30:31] offset:160
	ds_write_b64 v17, v[10:11] offset:1440
	ds_read_b64 v[10:11], v17 offset:1280
	ds_read_b64 v[20:21], v15 offset:320
	s_waitcnt lgkmcnt(0)
	v_pk_add_f32 v[26:27], v[20:21], v[10:11] neg_lo:[0,1] neg_hi:[0,1]
	v_pk_add_f32 v[10:11], v[20:21], v[10:11]
	v_mov_b32_e32 v20, v26
	v_mov_b32_e32 v21, v11
	;; [unrolled: 1-line block ×4, first 2 shown]
	s_waitcnt vmcnt(2)
	v_pk_mul_f32 v[32:33], v[20:21], v[22:23] op_sel:[0,1]
	v_mov_b32_e32 v30, v11
	v_mov_b32_e32 v31, v26
	v_pk_fma_f32 v[20:21], v[20:21], v[22:23], v[28:29] op_sel:[0,1,0]
	v_mov_b32_e32 v11, v33
	v_mov_b32_e32 v33, v27
	v_pk_fma_f32 v[28:29], v[22:23], v[30:31], v[20:21] neg_lo:[1,0,0] neg_hi:[1,0,0]
	v_pk_fma_f32 v[20:21], v[22:23], v[30:31], v[20:21] op_sel_hi:[0,1,1]
	v_pk_add_f32 v[10:11], v[10:11], v[32:33] neg_lo:[0,1] neg_hi:[0,1]
	v_mov_b32_e32 v29, v21
	v_pk_fma_f32 v[10:11], v[22:23], v[30:31], v[10:11] op_sel_hi:[0,1,1]
	ds_write_b64 v15, v[28:29] offset:320
	ds_write_b64 v17, v[10:11] offset:1280
	ds_read_b64 v[10:11], v17 offset:1120
	ds_read_b64 v[20:21], v15 offset:480
	s_waitcnt lgkmcnt(0)
	v_pk_add_f32 v[22:23], v[20:21], v[10:11] neg_lo:[0,1] neg_hi:[0,1]
	v_pk_add_f32 v[10:11], v[20:21], v[10:11]
	v_mov_b32_e32 v20, v22
	v_mov_b32_e32 v21, v11
	;; [unrolled: 1-line block ×4, first 2 shown]
	s_waitcnt vmcnt(1)
	v_pk_mul_f32 v[30:31], v[20:21], v[24:25] op_sel:[0,1]
	v_mov_b32_e32 v28, v11
	v_mov_b32_e32 v29, v22
	v_pk_fma_f32 v[20:21], v[20:21], v[24:25], v[26:27] op_sel:[0,1,0]
	v_mov_b32_e32 v11, v31
	v_mov_b32_e32 v31, v23
	v_pk_fma_f32 v[26:27], v[24:25], v[28:29], v[20:21] neg_lo:[1,0,0] neg_hi:[1,0,0]
	v_pk_fma_f32 v[20:21], v[24:25], v[28:29], v[20:21] op_sel_hi:[0,1,1]
	v_pk_add_f32 v[10:11], v[10:11], v[30:31] neg_lo:[0,1] neg_hi:[0,1]
	v_mov_b32_e32 v27, v21
	v_pk_fma_f32 v[10:11], v[24:25], v[28:29], v[10:11] op_sel_hi:[0,1,1]
	ds_write_b64 v15, v[26:27] offset:480
	ds_write_b64 v17, v[10:11] offset:1120
	ds_read_b64 v[20:21], v17 offset:960
	ds_read_b64 v[22:23], v15 offset:640
	v_add3_u32 v10, 0, v18, v16
	v_mad_u32_u24 v11, v6, s0, v10
	v_cmp_gt_u32_e64 s[0:1], 10, v6
	s_waitcnt lgkmcnt(0)
	v_pk_add_f32 v[18:19], v[22:23], v[20:21] neg_lo:[0,1] neg_hi:[0,1]
	v_pk_add_f32 v[20:21], v[22:23], v[20:21]
	v_mov_b32_e32 v22, v18
	v_mov_b32_e32 v23, v21
	;; [unrolled: 1-line block ×4, first 2 shown]
	s_waitcnt vmcnt(0)
	v_pk_mul_f32 v[28:29], v[22:23], v[12:13] op_sel:[0,1]
	v_mov_b32_e32 v26, v21
	v_mov_b32_e32 v27, v18
	v_pk_fma_f32 v[22:23], v[22:23], v[12:13], v[24:25] op_sel:[0,1,0]
	v_mov_b32_e32 v21, v29
	v_mov_b32_e32 v29, v19
	v_pk_fma_f32 v[24:25], v[12:13], v[26:27], v[22:23] neg_lo:[1,0,0] neg_hi:[1,0,0]
	v_pk_fma_f32 v[22:23], v[12:13], v[26:27], v[22:23] op_sel_hi:[0,1,1]
	v_pk_add_f32 v[18:19], v[20:21], v[28:29] neg_lo:[0,1] neg_hi:[0,1]
	v_mov_b32_e32 v25, v23
	v_pk_fma_f32 v[12:13], v[12:13], v[26:27], v[18:19] op_sel_hi:[0,1,1]
	ds_write_b64 v15, v[24:25] offset:640
	ds_write_b64 v17, v[12:13] offset:960
	s_waitcnt lgkmcnt(0)
	; wave barrier
	s_waitcnt lgkmcnt(0)
	s_waitcnt lgkmcnt(0)
	; wave barrier
	s_waitcnt lgkmcnt(0)
	ds_read2_b64 v[18:21], v10 offset0:20 offset1:40
	ds_read2_b64 v[22:25], v10 offset0:60 offset1:80
	;; [unrolled: 1-line block ×4, first 2 shown]
	ds_read_b64 v[12:13], v15
	ds_read_b64 v[34:35], v10 offset:1440
	s_waitcnt lgkmcnt(0)
	v_pk_add_f32 v[42:43], v[20:21], v[24:25] neg_lo:[0,1] neg_hi:[0,1]
	v_pk_add_f32 v[36:37], v[24:25], v[28:29]
	v_pk_add_f32 v[38:39], v[20:21], v[32:33] neg_lo:[0,1] neg_hi:[0,1]
	v_pk_add_f32 v[44:45], v[32:33], v[28:29] neg_lo:[0,1] neg_hi:[0,1]
	v_pk_add_f32 v[40:41], v[24:25], v[28:29] neg_lo:[0,1] neg_hi:[0,1]
	v_pk_add_f32 v[46:47], v[24:25], v[20:21] neg_lo:[0,1] neg_hi:[0,1]
	v_pk_add_f32 v[48:49], v[28:29], v[32:33] neg_lo:[0,1] neg_hi:[0,1]
	v_pk_add_f32 v[52:53], v[26:27], v[30:31] neg_lo:[0,1] neg_hi:[0,1]
	v_pk_add_f32 v[54:55], v[22:23], v[34:35]
	v_pk_add_f32 v[56:57], v[26:27], v[22:23] neg_lo:[0,1] neg_hi:[0,1]
	v_pk_add_f32 v[58:59], v[30:31], v[34:35] neg_lo:[0,1] neg_hi:[0,1]
	v_pk_fma_f32 v[36:37], v[36:37], 0.5, v[12:13] op_sel_hi:[1,0,1] neg_lo:[1,0,0] neg_hi:[1,0,0]
	v_pk_add_f32 v[42:43], v[42:43], v[44:45]
	v_pk_mul_f32 v[44:45], v[38:39], s[4:5] op_sel_hi:[1,0]
	v_pk_add_f32 v[50:51], v[22:23], v[34:35] neg_lo:[0,1] neg_hi:[0,1]
	v_pk_add_f32 v[46:47], v[46:47], v[48:49]
	v_pk_mul_f32 v[48:49], v[40:41], s[10:11] op_sel_hi:[1,0]
	v_pk_fma_f32 v[54:55], v[54:55], 0.5, v[18:19] op_sel_hi:[1,0,1] neg_lo:[1,0,0] neg_hi:[1,0,0]
	v_pk_add_f32 v[56:57], v[56:57], v[58:59]
	v_pk_add_f32 v[58:59], v[36:37], v[44:45] op_sel:[0,1] op_sel_hi:[1,0]
	v_pk_add_f32 v[36:37], v[36:37], v[44:45] op_sel:[0,1] op_sel_hi:[1,0] neg_lo:[0,1] neg_hi:[0,1]
	v_pk_mul_f32 v[44:45], v[52:53], s[4:5] op_sel_hi:[1,0]
	v_pk_add_f32 v[36:37], v[36:37], v[48:49] op_sel:[0,1] op_sel_hi:[1,0] neg_lo:[0,1] neg_hi:[0,1]
	v_pk_add_f32 v[48:49], v[58:59], v[48:49] op_sel:[0,1] op_sel_hi:[1,0]
	v_pk_add_f32 v[58:59], v[54:55], v[44:45] op_sel:[0,1] op_sel_hi:[1,0] neg_lo:[0,1] neg_hi:[0,1]
	v_pk_add_f32 v[44:45], v[54:55], v[44:45] op_sel:[0,1] op_sel_hi:[1,0]
	v_pk_mul_f32 v[54:55], v[50:51], s[10:11] op_sel_hi:[1,0]
	v_pk_mul_f32 v[40:41], v[40:41], s[4:5] op_sel_hi:[1,0]
	v_pk_add_f32 v[44:45], v[44:45], v[54:55] op_sel:[0,1] op_sel_hi:[1,0] neg_lo:[0,1] neg_hi:[0,1]
	v_pk_add_f32 v[54:55], v[58:59], v[54:55] op_sel:[0,1] op_sel_hi:[1,0]
	v_mov_b32_e32 v59, v45
	v_mov_b32_e32 v58, v54
	v_pk_fma_f32 v[58:59], v[56:57], s[12:13], v[58:59] op_sel_hi:[1,0,1]
	v_mov_b32_e32 v45, v55
	v_pk_mul_f32 v[60:61], v[58:59], s[4:5] op_sel_hi:[1,0]
	v_pk_mul_f32 v[38:39], v[38:39], s[10:11] op_sel_hi:[1,0]
	v_pk_fma_f32 v[62:63], v[58:59], s[12:13], v[60:61] op_sel:[0,0,1] op_sel_hi:[1,0,0]
	v_pk_fma_f32 v[58:59], v[58:59], s[12:13], v[60:61] op_sel:[0,0,1] op_sel_hi:[1,0,0] neg_lo:[0,0,1] neg_hi:[0,0,1]
	; wave barrier
	s_nop 0
	v_mov_b32_e32 v63, v59
	v_pk_add_f32 v[58:59], v[20:21], v[32:33]
	s_nop 0
	v_pk_fma_f32 v[58:59], v[58:59], 0.5, v[12:13] op_sel_hi:[1,0,1] neg_lo:[1,0,0] neg_hi:[1,0,0]
	v_pk_add_f32 v[12:13], v[12:13], v[20:21]
	v_pk_add_f32 v[60:61], v[58:59], v[40:41] op_sel:[0,1] op_sel_hi:[1,0] neg_lo:[0,1] neg_hi:[0,1]
	v_pk_add_f32 v[40:41], v[58:59], v[40:41] op_sel:[0,1] op_sel_hi:[1,0]
	v_pk_fma_f32 v[20:21], v[56:57], s[12:13], v[44:45] op_sel_hi:[1,0,1]
	v_pk_add_f32 v[40:41], v[40:41], v[38:39] op_sel:[0,1] op_sel_hi:[1,0] neg_lo:[0,1] neg_hi:[0,1]
	v_pk_add_f32 v[38:39], v[60:61], v[38:39] op_sel:[0,1] op_sel_hi:[1,0]
	v_pk_add_f32 v[12:13], v[12:13], v[24:25]
	v_pk_mul_f32 v[24:25], v[20:21], s[12:13] op_sel_hi:[1,0]
	v_pk_add_f32 v[12:13], v[12:13], v[28:29]
	v_pk_fma_f32 v[20:21], v[20:21], s[14:15], v[24:25] op_sel:[0,0,1] op_sel_hi:[1,1,0] neg_lo:[0,0,1] neg_hi:[0,0,1]
	v_mov_b32_e32 v24, v38
	v_mov_b32_e32 v25, v41
	;; [unrolled: 1-line block ×3, first 2 shown]
	v_pk_add_f32 v[12:13], v[12:13], v[32:33]
	v_pk_fma_f32 v[24:25], v[46:47], s[12:13], v[24:25] op_sel_hi:[1,0,1]
	v_pk_fma_f32 v[32:33], v[46:47], s[12:13], v[40:41] op_sel_hi:[1,0,1]
	v_pk_add_f32 v[28:29], v[24:25], v[62:63]
	v_pk_add_f32 v[38:39], v[32:33], v[20:21] op_sel:[0,1] op_sel_hi:[1,0]
	ds_write2_b64 v11, v[28:29], v[38:39] offset0:2 offset1:3
	v_pk_add_f32 v[28:29], v[18:19], v[22:23]
	v_pk_add_f32 v[38:39], v[26:27], v[30:31]
	;; [unrolled: 1-line block ×3, first 2 shown]
	v_pk_fma_f32 v[18:19], v[38:39], 0.5, v[18:19] op_sel_hi:[1,0,1] neg_lo:[1,0,0] neg_hi:[1,0,0]
	v_pk_add_f32 v[28:29], v[28:29], v[30:31]
	v_mov_b32_e32 v41, v37
	v_pk_add_f32 v[22:23], v[22:23], v[26:27] neg_lo:[0,1] neg_hi:[0,1]
	v_pk_add_f32 v[26:27], v[34:35], v[30:31] neg_lo:[0,1] neg_hi:[0,1]
	v_mov_b32_e32 v37, v49
	v_pk_mul_f32 v[30:31], v[50:51], s[4:5] op_sel_hi:[1,0]
	v_pk_add_f32 v[28:29], v[28:29], v[34:35]
	v_pk_add_f32 v[22:23], v[22:23], v[26:27]
	v_pk_fma_f32 v[26:27], v[42:43], s[12:13], v[36:37] op_sel_hi:[1,0,1]
	v_pk_add_f32 v[34:35], v[18:19], v[30:31] op_sel:[0,1] op_sel_hi:[1,0]
	v_pk_mul_f32 v[36:37], v[52:53], s[10:11] op_sel_hi:[1,0]
	v_pk_add_f32 v[18:19], v[18:19], v[30:31] op_sel:[0,1] op_sel_hi:[1,0] neg_lo:[0,1] neg_hi:[0,1]
	v_pk_add_f32 v[34:35], v[36:37], v[34:35] op_sel:[1,0] op_sel_hi:[0,1]
	v_pk_add_f32 v[18:19], v[18:19], v[36:37] op_sel:[0,1] op_sel_hi:[1,0] neg_lo:[0,1] neg_hi:[0,1]
	v_mov_b32_e32 v40, v48
	v_pk_fma_f32 v[30:31], v[22:23], s[12:13], v[18:19] op_sel_hi:[1,0,1]
	v_mov_b32_e32 v19, v35
	v_pk_fma_f32 v[18:19], v[22:23], s[12:13], v[18:19] op_sel_hi:[1,0,1]
	v_pk_fma_f32 v[40:41], v[42:43], s[12:13], v[40:41] op_sel_hi:[1,0,1]
	;; [unrolled: 1-line block ×3, first 2 shown]
	v_pk_mul_f32 v[22:23], v[18:19], s[18:19] op_sel_hi:[1,0]
	s_mov_b32 s19, s10
	v_pk_fma_f32 v[18:19], v[18:19], s[16:17], v[22:23] op_sel:[0,0,1] op_sel_hi:[1,1,0] neg_lo:[0,0,1] neg_hi:[0,0,1]
	v_pk_mul_f32 v[22:23], v[42:43], s[18:19] op_sel_hi:[0,1]
	s_mov_b32 s11, s18
	v_pk_fma_f32 v[34:35], v[30:31], s[10:11], v[22:23] op_sel:[1,0,0]
	v_pk_fma_f32 v[22:23], v[30:31], s[10:11], v[22:23] op_sel:[1,0,0] neg_lo:[0,0,1] neg_hi:[0,0,1]
	v_pk_add_f32 v[38:39], v[12:13], v[28:29]
	v_mov_b32_e32 v35, v23
	v_pk_add_f32 v[22:23], v[40:41], v[34:35]
	v_pk_add_f32 v[30:31], v[26:27], v[18:19] op_sel:[1,0] op_sel_hi:[0,1]
	ds_write2_b64 v11, v[38:39], v[22:23] offset1:1
	v_pk_add_f32 v[12:13], v[12:13], v[28:29] neg_lo:[0,1] neg_hi:[0,1]
	v_mov_b32_e32 v22, v31
	v_mov_b32_e32 v23, v30
	ds_write2_b64 v11, v[22:23], v[12:13] offset0:4 offset1:5
	v_pk_add_f32 v[12:13], v[40:41], v[34:35] neg_lo:[0,1] neg_hi:[0,1]
	v_pk_add_f32 v[22:23], v[24:25], v[62:63] neg_lo:[0,1] neg_hi:[0,1]
	v_pk_add_f32 v[18:19], v[26:27], v[18:19] op_sel:[1,0] op_sel_hi:[0,1] neg_lo:[0,1] neg_hi:[0,1]
	ds_write2_b64 v11, v[12:13], v[22:23] offset0:6 offset1:7
	v_pk_add_f32 v[12:13], v[32:33], v[20:21] op_sel:[0,1] op_sel_hi:[1,0] neg_lo:[0,1] neg_hi:[0,1]
	v_mov_b32_e32 v20, v19
	v_mov_b32_e32 v21, v18
	ds_write2_b64 v11, v[12:13], v[20:21] offset0:8 offset1:9
	v_add_u32_e32 v12, -10, v6
	v_cndmask_b32_e64 v17, v12, v6, s[0:1]
	v_mul_i32_i24_e32 v12, 9, v17
	v_mov_b32_e32 v13, v7
	v_lshl_add_u64 v[12:13], v[12:13], 3, s[8:9]
	s_waitcnt lgkmcnt(0)
	; wave barrier
	s_waitcnt lgkmcnt(0)
	global_load_dwordx4 v[18:21], v[12:13], off
	global_load_dwordx4 v[22:25], v[12:13], off offset:16
	global_load_dwordx4 v[26:29], v[12:13], off offset:32
	;; [unrolled: 1-line block ×3, first 2 shown]
	global_load_dwordx2 v[50:51], v[12:13], off offset:64
	ds_read2_b64 v[34:37], v10 offset0:20 offset1:40
	ds_read2_b64 v[38:41], v10 offset0:60 offset1:80
	;; [unrolled: 1-line block ×3, first 2 shown]
	v_mov_b32_e32 v12, 0x320
	v_cmp_lt_u32_e64 s[0:1], 9, v6
	v_lshlrev_b32_e32 v13, 3, v17
	ds_read2_b64 v[46:49], v10 offset0:140 offset1:160
	v_cndmask_b32_e64 v12, 0, v12, s[0:1]
	v_add_u32_e32 v12, 0, v12
	v_add3_u32 v66, v12, v13, v16
	s_movk_i32 s0, 0xffb8
	v_mad_i32_i24 v11, v6, s0, v11
	s_waitcnt vmcnt(4) lgkmcnt(3)
	v_pk_mul_f32 v[12:13], v[18:19], v[34:35] op_sel:[0,1]
	s_nop 0
	v_pk_fma_f32 v[16:17], v[18:19], v[34:35], v[12:13] op_sel:[0,0,1] op_sel_hi:[1,1,0] neg_lo:[0,0,1] neg_hi:[0,0,1]
	v_pk_fma_f32 v[12:13], v[18:19], v[34:35], v[12:13] op_sel:[0,0,1] op_sel_hi:[1,0,0]
	v_pk_mul_f32 v[18:19], v[20:21], v[36:37] op_sel:[0,1]
	v_mov_b32_e32 v17, v13
	v_pk_fma_f32 v[34:35], v[20:21], v[36:37], v[18:19] op_sel:[0,0,1] op_sel_hi:[1,1,0] neg_lo:[0,0,1] neg_hi:[0,0,1]
	v_pk_fma_f32 v[18:19], v[20:21], v[36:37], v[18:19] op_sel:[0,0,1] op_sel_hi:[1,0,0]
	s_waitcnt vmcnt(3) lgkmcnt(2)
	v_pk_mul_f32 v[12:13], v[22:23], v[38:39] op_sel:[0,1]
	v_mov_b32_e32 v35, v19
	v_pk_fma_f32 v[18:19], v[22:23], v[38:39], v[12:13] op_sel:[0,0,1] op_sel_hi:[1,1,0] neg_lo:[0,0,1] neg_hi:[0,0,1]
	v_pk_fma_f32 v[12:13], v[22:23], v[38:39], v[12:13] op_sel:[0,0,1] op_sel_hi:[1,0,0]
	ds_read_b64 v[20:21], v15
	ds_read_b64 v[36:37], v10 offset:1440
	v_mov_b32_e32 v19, v13
	v_pk_mul_f32 v[12:13], v[24:25], v[40:41] op_sel:[0,1]
	s_waitcnt lgkmcnt(0)
	v_pk_fma_f32 v[22:23], v[24:25], v[40:41], v[12:13] op_sel:[0,0,1] op_sel_hi:[1,1,0] neg_lo:[0,0,1] neg_hi:[0,0,1]
	v_pk_fma_f32 v[12:13], v[24:25], v[40:41], v[12:13] op_sel:[0,0,1] op_sel_hi:[1,0,0]
	; wave barrier
	s_nop 0
	v_mov_b32_e32 v23, v13
	s_waitcnt vmcnt(2)
	v_pk_mul_f32 v[12:13], v[26:27], v[42:43] op_sel:[0,1]
	s_nop 0
	v_pk_fma_f32 v[24:25], v[26:27], v[42:43], v[12:13] op_sel:[0,0,1] op_sel_hi:[1,1,0] neg_lo:[0,0,1] neg_hi:[0,0,1]
	v_pk_fma_f32 v[12:13], v[26:27], v[42:43], v[12:13] op_sel:[0,0,1] op_sel_hi:[1,0,0]
	s_nop 0
	v_mov_b32_e32 v12, v29
	v_mov_b32_e32 v25, v13
	v_pk_mul_f32 v[12:13], v[44:45], v[12:13] op_sel_hi:[1,0]
	v_pk_add_f32 v[52:53], v[18:19], v[24:25] neg_lo:[0,1] neg_hi:[0,1]
	v_pk_fma_f32 v[26:27], v[44:45], v[28:29], v[12:13] op_sel:[0,0,1] op_sel_hi:[1,1,0] neg_lo:[0,0,1] neg_hi:[0,0,1]
	v_pk_fma_f32 v[12:13], v[44:45], v[28:29], v[12:13] op_sel:[0,0,1] op_sel_hi:[1,0,0]
	v_pk_add_f32 v[44:45], v[34:35], v[22:23] neg_lo:[0,1] neg_hi:[0,1]
	v_mov_b32_e32 v27, v13
	s_waitcnt vmcnt(1)
	v_pk_mul_f32 v[12:13], v[46:47], v[30:31] op_sel:[0,1]
	v_pk_add_f32 v[40:41], v[22:23], v[26:27] neg_lo:[0,1] neg_hi:[0,1]
	v_pk_fma_f32 v[28:29], v[46:47], v[30:31], v[12:13] op_sel:[0,0,1] op_sel_hi:[1,1,0] neg_lo:[0,0,1] neg_hi:[0,0,1]
	v_pk_fma_f32 v[12:13], v[46:47], v[30:31], v[12:13] op_sel:[0,0,1] op_sel_hi:[1,0,0]
	v_pk_mul_f32 v[42:43], v[40:41], s[10:11] op_sel_hi:[1,0]
	v_mov_b32_e32 v12, v33
	v_mov_b32_e32 v29, v13
	v_pk_mul_f32 v[12:13], v[48:49], v[12:13] op_sel_hi:[1,0]
	s_nop 0
	v_pk_fma_f32 v[30:31], v[48:49], v[32:33], v[12:13] op_sel:[0,0,1] op_sel_hi:[1,1,0] neg_lo:[0,0,1] neg_hi:[0,0,1]
	v_pk_fma_f32 v[12:13], v[48:49], v[32:33], v[12:13] op_sel:[0,0,1] op_sel_hi:[1,0,0]
	s_nop 0
	v_mov_b32_e32 v31, v13
	s_waitcnt vmcnt(0)
	v_pk_mul_f32 v[12:13], v[36:37], v[50:51] op_sel:[0,1]
	v_pk_add_f32 v[46:47], v[30:31], v[26:27] neg_lo:[0,1] neg_hi:[0,1]
	v_pk_fma_f32 v[32:33], v[36:37], v[50:51], v[12:13] op_sel:[0,0,1] op_sel_hi:[1,1,0] neg_lo:[0,0,1] neg_hi:[0,0,1]
	v_pk_fma_f32 v[12:13], v[36:37], v[50:51], v[12:13] op_sel:[0,0,1] op_sel_hi:[1,0,0]
	v_pk_add_f32 v[36:37], v[34:35], v[30:31] neg_lo:[0,1] neg_hi:[0,1]
	v_mov_b32_e32 v33, v13
	v_pk_add_f32 v[12:13], v[22:23], v[26:27]
	v_pk_mul_f32 v[38:39], v[36:37], s[4:5] op_sel_hi:[1,0]
	v_pk_fma_f32 v[12:13], v[12:13], 0.5, v[20:21] op_sel_hi:[1,0,1] neg_lo:[1,0,0] neg_hi:[1,0,0]
	v_pk_add_f32 v[44:45], v[44:45], v[46:47]
	v_pk_add_f32 v[46:47], v[12:13], v[38:39] op_sel:[0,1] op_sel_hi:[1,0]
	v_pk_add_f32 v[12:13], v[12:13], v[38:39] op_sel:[0,1] op_sel_hi:[1,0] neg_lo:[0,1] neg_hi:[0,1]
	v_pk_add_f32 v[38:39], v[46:47], v[42:43] op_sel:[0,1] op_sel_hi:[1,0]
	v_pk_add_f32 v[12:13], v[12:13], v[42:43] op_sel:[0,1] op_sel_hi:[1,0] neg_lo:[0,1] neg_hi:[0,1]
	v_pk_add_f32 v[42:43], v[24:25], v[28:29]
	v_pk_add_f32 v[46:47], v[18:19], v[32:33] neg_lo:[0,1] neg_hi:[0,1]
	v_pk_fma_f32 v[42:43], v[42:43], 0.5, v[16:17] op_sel_hi:[1,0,1] neg_lo:[1,0,0] neg_hi:[1,0,0]
	v_pk_mul_f32 v[48:49], v[46:47], s[4:5] op_sel_hi:[1,0]
	v_pk_add_f32 v[50:51], v[24:25], v[28:29] neg_lo:[0,1] neg_hi:[0,1]
	v_pk_add_f32 v[54:55], v[32:33], v[28:29] neg_lo:[0,1] neg_hi:[0,1]
	v_mov_b32_e32 v60, v38
	v_pk_add_f32 v[52:53], v[52:53], v[54:55]
	v_pk_add_f32 v[54:55], v[42:43], v[48:49] op_sel:[0,1] op_sel_hi:[1,0]
	v_pk_add_f32 v[42:43], v[42:43], v[48:49] op_sel:[0,1] op_sel_hi:[1,0] neg_lo:[0,1] neg_hi:[0,1]
	v_pk_mul_f32 v[48:49], v[50:51], s[10:11] op_sel_hi:[1,0]
	v_mov_b32_e32 v61, v13
	v_pk_add_f32 v[42:43], v[42:43], v[48:49] op_sel:[0,1] op_sel_hi:[1,0] neg_lo:[0,1] neg_hi:[0,1]
	v_pk_add_f32 v[48:49], v[54:55], v[48:49] op_sel:[0,1] op_sel_hi:[1,0]
	v_mov_b32_e32 v55, v43
	v_mov_b32_e32 v54, v48
	v_pk_fma_f32 v[54:55], v[52:53], s[12:13], v[54:55] op_sel_hi:[1,0,1]
	v_pk_fma_f32 v[60:61], v[44:45], s[12:13], v[60:61] op_sel_hi:[1,0,1]
	v_pk_mul_f32 v[56:57], v[54:55], s[10:11] op_sel_hi:[1,0]
	v_mov_b32_e32 v43, v49
	v_pk_fma_f32 v[58:59], v[54:55], s[18:19], v[56:57] op_sel:[0,0,1] op_sel_hi:[1,0,0]
	v_pk_fma_f32 v[54:55], v[54:55], s[18:19], v[56:57] op_sel:[0,0,1] op_sel_hi:[1,0,0] neg_lo:[0,0,1] neg_hi:[0,0,1]
	v_pk_add_f32 v[56:57], v[16:17], v[18:19]
	v_mov_b32_e32 v59, v55
	v_pk_add_f32 v[54:55], v[20:21], v[34:35]
	v_pk_add_f32 v[56:57], v[56:57], v[24:25]
	;; [unrolled: 1-line block ×9, first 2 shown]
	v_pk_add_f32 v[22:23], v[22:23], v[34:35] neg_lo:[0,1] neg_hi:[0,1]
	v_pk_add_f32 v[26:27], v[26:27], v[30:31] neg_lo:[0,1] neg_hi:[0,1]
	ds_write2_b64 v66, v[62:63], v[64:65] offset1:10
	v_pk_add_f32 v[62:63], v[34:35], v[30:31]
	v_pk_add_f32 v[22:23], v[22:23], v[26:27]
	;; [unrolled: 1-line block ×3, first 2 shown]
	v_pk_add_f32 v[18:19], v[24:25], v[18:19] neg_lo:[0,1] neg_hi:[0,1]
	v_pk_add_f32 v[24:25], v[28:29], v[32:33] neg_lo:[0,1] neg_hi:[0,1]
	v_pk_fma_f32 v[20:21], v[62:63], 0.5, v[20:21] op_sel_hi:[1,0,1] neg_lo:[1,0,0] neg_hi:[1,0,0]
	v_pk_add_f32 v[18:19], v[18:19], v[24:25]
	v_pk_mul_f32 v[24:25], v[40:41], s[4:5] op_sel_hi:[1,0]
	v_pk_fma_f32 v[16:17], v[26:27], 0.5, v[16:17] op_sel_hi:[1,0,1] neg_lo:[1,0,0] neg_hi:[1,0,0]
	v_pk_mul_f32 v[26:27], v[36:37], s[10:11] op_sel_hi:[1,0]
	v_pk_add_f32 v[28:29], v[20:21], v[24:25] op_sel:[0,1] op_sel_hi:[1,0] neg_lo:[0,1] neg_hi:[0,1]
	v_pk_add_f32 v[20:21], v[20:21], v[24:25] op_sel:[0,1] op_sel_hi:[1,0]
	v_pk_add_f32 v[24:25], v[28:29], v[26:27] op_sel:[0,1] op_sel_hi:[1,0]
	v_pk_mul_f32 v[28:29], v[50:51], s[4:5] op_sel_hi:[1,0]
	v_pk_mul_f32 v[30:31], v[46:47], s[10:11] op_sel_hi:[1,0]
	v_pk_add_f32 v[32:33], v[16:17], v[28:29] op_sel:[0,1] op_sel_hi:[1,0] neg_lo:[0,1] neg_hi:[0,1]
	v_pk_add_f32 v[16:17], v[16:17], v[28:29] op_sel:[0,1] op_sel_hi:[1,0]
	v_pk_add_f32 v[28:29], v[32:33], v[30:31] op_sel:[0,1] op_sel_hi:[1,0]
	v_pk_add_f32 v[16:17], v[16:17], v[30:31] op_sel:[0,1] op_sel_hi:[1,0] neg_lo:[0,1] neg_hi:[0,1]
	v_mov_b32_e32 v30, v28
	v_mov_b32_e32 v31, v17
	v_pk_fma_f32 v[30:31], v[18:19], s[12:13], v[30:31] op_sel_hi:[1,0,1]
	v_mov_b32_e32 v17, v29
	v_pk_add_f32 v[20:21], v[20:21], v[26:27] op_sel:[0,1] op_sel_hi:[1,0] neg_lo:[0,1] neg_hi:[0,1]
	v_pk_mul_f32 v[32:33], v[30:31], s[4:5] op_sel_hi:[1,0]
	v_pk_fma_f32 v[16:17], v[18:19], s[12:13], v[16:17] op_sel_hi:[1,0,1]
	v_mov_b32_e32 v26, v24
	v_mov_b32_e32 v27, v21
	v_pk_fma_f32 v[34:35], v[30:31], s[12:13], v[32:33] op_sel:[0,0,1] op_sel_hi:[1,0,0]
	v_pk_fma_f32 v[30:31], v[30:31], s[12:13], v[32:33] op_sel:[0,0,1] op_sel_hi:[1,0,0] neg_lo:[0,0,1] neg_hi:[0,0,1]
	v_mov_b32_e32 v21, v25
	v_pk_mul_f32 v[18:19], v[16:17], s[12:13] op_sel_hi:[1,0]
	v_pk_fma_f32 v[26:27], v[22:23], s[12:13], v[26:27] op_sel_hi:[1,0,1]
	v_mov_b32_e32 v35, v31
	v_pk_fma_f32 v[20:21], v[22:23], s[12:13], v[20:21] op_sel_hi:[1,0,1]
	v_pk_fma_f32 v[16:17], v[16:17], s[14:15], v[18:19] op_sel:[0,0,1] op_sel_hi:[1,1,0] neg_lo:[0,0,1] neg_hi:[0,0,1]
	v_pk_add_f32 v[30:31], v[26:27], v[34:35]
	v_pk_add_f32 v[18:19], v[20:21], v[16:17] op_sel:[0,1] op_sel_hi:[1,0]
	ds_write2_b64 v66, v[30:31], v[18:19] offset0:20 offset1:30
	v_pk_fma_f32 v[18:19], v[52:53], s[12:13], v[42:43] op_sel_hi:[1,0,1]
	v_mov_b32_e32 v13, v39
	v_pk_mul_f32 v[22:23], v[18:19], s[18:19] op_sel_hi:[1,0]
	v_pk_fma_f32 v[12:13], v[44:45], s[12:13], v[12:13] op_sel_hi:[1,0,1]
	v_pk_fma_f32 v[18:19], v[18:19], s[16:17], v[22:23] op_sel:[0,0,1] op_sel_hi:[1,1,0] neg_lo:[0,0,1] neg_hi:[0,0,1]
	v_pk_add_f32 v[24:25], v[54:55], v[56:57] neg_lo:[0,1] neg_hi:[0,1]
	v_pk_add_f32 v[22:23], v[12:13], v[18:19] op_sel:[0,1] op_sel_hi:[1,0]
	ds_write2_b64 v66, v[22:23], v[24:25] offset0:40 offset1:50
	v_pk_add_f32 v[22:23], v[60:61], v[58:59] neg_lo:[0,1] neg_hi:[0,1]
	v_pk_add_f32 v[24:25], v[26:27], v[34:35] neg_lo:[0,1] neg_hi:[0,1]
	v_pk_add_f32 v[16:17], v[20:21], v[16:17] op_sel:[0,1] op_sel_hi:[1,0] neg_lo:[0,1] neg_hi:[0,1]
	v_pk_add_f32 v[12:13], v[12:13], v[18:19] op_sel:[0,1] op_sel_hi:[1,0] neg_lo:[0,1] neg_hi:[0,1]
	ds_write2_b64 v66, v[22:23], v[24:25] offset0:60 offset1:70
	ds_write2_b64 v66, v[16:17], v[12:13] offset0:80 offset1:90
	s_waitcnt lgkmcnt(0)
	; wave barrier
	s_waitcnt lgkmcnt(0)
	global_load_dwordx2 v[0:1], v[0:1], off offset:720
	s_nop 0
	global_load_dwordx2 v[12:13], v[8:9], off offset:880
	global_load_dwordx2 v[32:33], v[8:9], off offset:1040
	;; [unrolled: 1-line block ×4, first 2 shown]
	ds_read2_b64 v[16:19], v10 offset0:100 offset1:120
	ds_read2_b64 v[20:23], v10 offset0:20 offset1:40
	;; [unrolled: 1-line block ×4, first 2 shown]
	ds_read_b64 v[8:9], v15
	ds_read_b64 v[38:39], v10 offset:1440
	s_waitcnt lgkmcnt(0)
	; wave barrier
	s_waitcnt vmcnt(4) lgkmcnt(0)
	v_pk_mul_f32 v[40:41], v[0:1], v[16:17] op_sel:[0,1]
	s_nop 0
	v_pk_fma_f32 v[42:43], v[0:1], v[16:17], v[40:41] op_sel:[0,0,1] op_sel_hi:[1,1,0] neg_lo:[0,0,1] neg_hi:[0,0,1]
	v_pk_fma_f32 v[0:1], v[0:1], v[16:17], v[40:41] op_sel:[0,0,1] op_sel_hi:[1,0,0]
	s_waitcnt vmcnt(3)
	v_pk_mul_f32 v[16:17], v[12:13], v[18:19] op_sel:[0,1]
	v_mov_b32_e32 v43, v1
	v_pk_fma_f32 v[40:41], v[12:13], v[18:19], v[16:17] op_sel:[0,0,1] op_sel_hi:[1,1,0] neg_lo:[0,0,1] neg_hi:[0,0,1]
	v_pk_fma_f32 v[12:13], v[12:13], v[18:19], v[16:17] op_sel:[0,0,1] op_sel_hi:[1,0,0]
	s_waitcnt vmcnt(2)
	v_pk_mul_f32 v[18:19], v[32:33], v[24:25] op_sel:[0,1]
	v_mov_b32_e32 v41, v13
	v_pk_add_f32 v[12:13], v[20:21], v[40:41] neg_lo:[0,1] neg_hi:[0,1]
	v_pk_add_f32 v[0:1], v[8:9], v[42:43] neg_lo:[0,1] neg_hi:[0,1]
	v_pk_fma_f32 v[16:17], v[20:21], 2.0, v[12:13] op_sel_hi:[1,0,1] neg_lo:[0,0,1] neg_hi:[0,0,1]
	v_pk_fma_f32 v[20:21], v[32:33], v[24:25], v[18:19] op_sel:[0,0,1] op_sel_hi:[1,1,0] neg_lo:[0,0,1] neg_hi:[0,0,1]
	v_pk_fma_f32 v[18:19], v[32:33], v[24:25], v[18:19] op_sel:[0,0,1] op_sel_hi:[1,0,0]
	v_pk_fma_f32 v[8:9], v[8:9], 2.0, v[0:1] op_sel_hi:[1,0,1] neg_lo:[0,0,1] neg_hi:[0,0,1]
	v_mov_b32_e32 v21, v19
	v_pk_add_f32 v[18:19], v[22:23], v[20:21] neg_lo:[0,1] neg_hi:[0,1]
	s_nop 0
	v_pk_fma_f32 v[20:21], v[22:23], 2.0, v[18:19] op_sel_hi:[1,0,1] neg_lo:[0,0,1] neg_hi:[0,0,1]
	s_waitcnt vmcnt(1)
	v_pk_mul_f32 v[22:23], v[34:35], v[26:27] op_sel:[0,1]
	s_nop 0
	v_pk_fma_f32 v[24:25], v[34:35], v[26:27], v[22:23] op_sel:[0,0,1] op_sel_hi:[1,1,0] neg_lo:[0,0,1] neg_hi:[0,0,1]
	v_pk_fma_f32 v[22:23], v[34:35], v[26:27], v[22:23] op_sel:[0,0,1] op_sel_hi:[1,0,0]
	s_waitcnt vmcnt(0)
	v_pk_mul_f32 v[26:27], v[36:37], v[38:39] op_sel:[0,1]
	v_mov_b32_e32 v25, v23
	v_pk_add_f32 v[22:23], v[28:29], v[24:25] neg_lo:[0,1] neg_hi:[0,1]
	s_nop 0
	v_pk_fma_f32 v[24:25], v[28:29], 2.0, v[22:23] op_sel_hi:[1,0,1] neg_lo:[0,0,1] neg_hi:[0,0,1]
	v_pk_fma_f32 v[28:29], v[36:37], v[38:39], v[26:27] op_sel:[0,0,1] op_sel_hi:[1,1,0] neg_lo:[0,0,1] neg_hi:[0,0,1]
	v_pk_fma_f32 v[26:27], v[36:37], v[38:39], v[26:27] op_sel:[0,0,1] op_sel_hi:[1,0,0]
	s_nop 0
	v_mov_b32_e32 v29, v27
	v_pk_add_f32 v[26:27], v[30:31], v[28:29] neg_lo:[0,1] neg_hi:[0,1]
	s_nop 0
	v_pk_fma_f32 v[28:29], v[30:31], 2.0, v[26:27] op_sel_hi:[1,0,1] neg_lo:[0,0,1] neg_hi:[0,0,1]
	ds_write_b64 v10, v[0:1] offset:800
	ds_write2_b64 v10, v[8:9], v[16:17] offset1:20
	ds_write_b64 v11, v[12:13] offset:960
	ds_write_b64 v10, v[20:21] offset:320
	ds_write_b64 v11, v[18:19] offset:1120
	ds_write_b64 v10, v[24:25] offset:480
	ds_write_b64 v11, v[22:23] offset:1280
	ds_write_b64 v10, v[28:29] offset:640
	ds_write_b64 v11, v[26:27] offset:1440
	s_waitcnt lgkmcnt(0)
	; wave barrier
	s_waitcnt lgkmcnt(0)
	s_and_saveexec_b64 s[0:1], vcc
	s_cbranch_execz .LBB0_20
; %bb.19:
	v_lshl_add_u32 v13, v6, 3, v14
	v_mul_lo_u32 v12, s3, v4
	v_mul_lo_u32 v5, s2, v5
	v_mad_u64_u32 v[0:1], s[0:1], s2, v4, 0
	ds_read2_b64 v[8:11], v13 offset1:20
	v_add3_u32 v1, v1, v5, v12
	v_lshl_add_u64 v[0:1], v[0:1], 3, s[6:7]
	v_lshl_add_u64 v[4:5], v[2:3], 3, v[0:1]
	;; [unrolled: 1-line block ×3, first 2 shown]
	s_waitcnt lgkmcnt(0)
	global_store_dwordx2 v[0:1], v[8:9], off
	v_add_u32_e32 v0, 20, v6
	v_mov_b32_e32 v1, v7
	v_lshl_add_u64 v[8:9], v[0:1], 3, v[4:5]
	ds_read2_b64 v[0:3], v13 offset0:40 offset1:60
	global_store_dwordx2 v[8:9], v[10:11], off
	v_add_u32_e32 v8, 40, v6
	v_mov_b32_e32 v9, v7
	v_lshl_add_u64 v[8:9], v[8:9], 3, v[4:5]
	s_waitcnt lgkmcnt(0)
	global_store_dwordx2 v[8:9], v[0:1], off
	ds_read2_b64 v[8:11], v13 offset0:80 offset1:100
	v_add_u32_e32 v0, 60, v6
	v_mov_b32_e32 v1, v7
	v_lshl_add_u64 v[0:1], v[0:1], 3, v[4:5]
	global_store_dwordx2 v[0:1], v[2:3], off
	v_add_u32_e32 v0, 0x50, v6
	v_mov_b32_e32 v1, v7
	v_lshl_add_u64 v[0:1], v[0:1], 3, v[4:5]
	s_waitcnt lgkmcnt(0)
	global_store_dwordx2 v[0:1], v[8:9], off
	v_add_u32_e32 v0, 0x64, v6
	v_mov_b32_e32 v1, v7
	v_lshl_add_u64 v[8:9], v[0:1], 3, v[4:5]
	ds_read2_b64 v[0:3], v13 offset0:120 offset1:140
	global_store_dwordx2 v[8:9], v[10:11], off
	v_add_u32_e32 v8, 0x78, v6
	v_mov_b32_e32 v9, v7
	v_lshl_add_u64 v[8:9], v[8:9], 3, v[4:5]
	s_waitcnt lgkmcnt(0)
	global_store_dwordx2 v[8:9], v[0:1], off
	ds_read2_b64 v[8:11], v13 offset0:160 offset1:180
	v_add_u32_e32 v0, 0x8c, v6
	v_mov_b32_e32 v1, v7
	v_lshl_add_u64 v[0:1], v[0:1], 3, v[4:5]
	global_store_dwordx2 v[0:1], v[2:3], off
	v_add_u32_e32 v0, 0xa0, v6
	v_mov_b32_e32 v1, v7
	v_lshl_add_u64 v[0:1], v[0:1], 3, v[4:5]
	v_add_u32_e32 v6, 0xb4, v6
	s_waitcnt lgkmcnt(0)
	global_store_dwordx2 v[0:1], v[8:9], off
	v_lshl_add_u64 v[0:1], v[6:7], 3, v[4:5]
	global_store_dwordx2 v[0:1], v[10:11], off
.LBB0_20:
	s_endpgm
	.section	.rodata,"a",@progbits
	.p2align	6, 0x0
	.amdhsa_kernel fft_rtc_fwd_len200_factors_10_10_2_wgs_60_tpt_20_halfLds_sp_op_CI_CI_unitstride_sbrr_C2R_dirReg
		.amdhsa_group_segment_fixed_size 0
		.amdhsa_private_segment_fixed_size 0
		.amdhsa_kernarg_size 104
		.amdhsa_user_sgpr_count 2
		.amdhsa_user_sgpr_dispatch_ptr 0
		.amdhsa_user_sgpr_queue_ptr 0
		.amdhsa_user_sgpr_kernarg_segment_ptr 1
		.amdhsa_user_sgpr_dispatch_id 0
		.amdhsa_user_sgpr_kernarg_preload_length 0
		.amdhsa_user_sgpr_kernarg_preload_offset 0
		.amdhsa_user_sgpr_private_segment_size 0
		.amdhsa_uses_dynamic_stack 0
		.amdhsa_enable_private_segment 0
		.amdhsa_system_sgpr_workgroup_id_x 1
		.amdhsa_system_sgpr_workgroup_id_y 0
		.amdhsa_system_sgpr_workgroup_id_z 0
		.amdhsa_system_sgpr_workgroup_info 0
		.amdhsa_system_vgpr_workitem_id 0
		.amdhsa_next_free_vgpr 67
		.amdhsa_next_free_sgpr 28
		.amdhsa_accum_offset 68
		.amdhsa_reserve_vcc 1
		.amdhsa_float_round_mode_32 0
		.amdhsa_float_round_mode_16_64 0
		.amdhsa_float_denorm_mode_32 3
		.amdhsa_float_denorm_mode_16_64 3
		.amdhsa_dx10_clamp 1
		.amdhsa_ieee_mode 1
		.amdhsa_fp16_overflow 0
		.amdhsa_tg_split 0
		.amdhsa_exception_fp_ieee_invalid_op 0
		.amdhsa_exception_fp_denorm_src 0
		.amdhsa_exception_fp_ieee_div_zero 0
		.amdhsa_exception_fp_ieee_overflow 0
		.amdhsa_exception_fp_ieee_underflow 0
		.amdhsa_exception_fp_ieee_inexact 0
		.amdhsa_exception_int_div_zero 0
	.end_amdhsa_kernel
	.text
.Lfunc_end0:
	.size	fft_rtc_fwd_len200_factors_10_10_2_wgs_60_tpt_20_halfLds_sp_op_CI_CI_unitstride_sbrr_C2R_dirReg, .Lfunc_end0-fft_rtc_fwd_len200_factors_10_10_2_wgs_60_tpt_20_halfLds_sp_op_CI_CI_unitstride_sbrr_C2R_dirReg
                                        ; -- End function
	.section	.AMDGPU.csdata,"",@progbits
; Kernel info:
; codeLenInByte = 5544
; NumSgprs: 34
; NumVgprs: 67
; NumAgprs: 0
; TotalNumVgprs: 67
; ScratchSize: 0
; MemoryBound: 0
; FloatMode: 240
; IeeeMode: 1
; LDSByteSize: 0 bytes/workgroup (compile time only)
; SGPRBlocks: 4
; VGPRBlocks: 8
; NumSGPRsForWavesPerEU: 34
; NumVGPRsForWavesPerEU: 67
; AccumOffset: 68
; Occupancy: 7
; WaveLimiterHint : 1
; COMPUTE_PGM_RSRC2:SCRATCH_EN: 0
; COMPUTE_PGM_RSRC2:USER_SGPR: 2
; COMPUTE_PGM_RSRC2:TRAP_HANDLER: 0
; COMPUTE_PGM_RSRC2:TGID_X_EN: 1
; COMPUTE_PGM_RSRC2:TGID_Y_EN: 0
; COMPUTE_PGM_RSRC2:TGID_Z_EN: 0
; COMPUTE_PGM_RSRC2:TIDIG_COMP_CNT: 0
; COMPUTE_PGM_RSRC3_GFX90A:ACCUM_OFFSET: 16
; COMPUTE_PGM_RSRC3_GFX90A:TG_SPLIT: 0
	.text
	.p2alignl 6, 3212836864
	.fill 256, 4, 3212836864
	.type	__hip_cuid_130990f09a8dbf47,@object ; @__hip_cuid_130990f09a8dbf47
	.section	.bss,"aw",@nobits
	.globl	__hip_cuid_130990f09a8dbf47
__hip_cuid_130990f09a8dbf47:
	.byte	0                               ; 0x0
	.size	__hip_cuid_130990f09a8dbf47, 1

	.ident	"AMD clang version 19.0.0git (https://github.com/RadeonOpenCompute/llvm-project roc-6.4.0 25133 c7fe45cf4b819c5991fe208aaa96edf142730f1d)"
	.section	".note.GNU-stack","",@progbits
	.addrsig
	.addrsig_sym __hip_cuid_130990f09a8dbf47
	.amdgpu_metadata
---
amdhsa.kernels:
  - .agpr_count:     0
    .args:
      - .actual_access:  read_only
        .address_space:  global
        .offset:         0
        .size:           8
        .value_kind:     global_buffer
      - .offset:         8
        .size:           8
        .value_kind:     by_value
      - .actual_access:  read_only
        .address_space:  global
        .offset:         16
        .size:           8
        .value_kind:     global_buffer
      - .actual_access:  read_only
        .address_space:  global
        .offset:         24
        .size:           8
        .value_kind:     global_buffer
      - .actual_access:  read_only
        .address_space:  global
        .offset:         32
        .size:           8
        .value_kind:     global_buffer
      - .offset:         40
        .size:           8
        .value_kind:     by_value
      - .actual_access:  read_only
        .address_space:  global
        .offset:         48
        .size:           8
        .value_kind:     global_buffer
      - .actual_access:  read_only
        .address_space:  global
        .offset:         56
        .size:           8
        .value_kind:     global_buffer
      - .offset:         64
        .size:           4
        .value_kind:     by_value
      - .actual_access:  read_only
        .address_space:  global
        .offset:         72
        .size:           8
        .value_kind:     global_buffer
      - .actual_access:  read_only
        .address_space:  global
        .offset:         80
        .size:           8
        .value_kind:     global_buffer
      - .actual_access:  read_only
        .address_space:  global
        .offset:         88
        .size:           8
        .value_kind:     global_buffer
      - .actual_access:  write_only
        .address_space:  global
        .offset:         96
        .size:           8
        .value_kind:     global_buffer
    .group_segment_fixed_size: 0
    .kernarg_segment_align: 8
    .kernarg_segment_size: 104
    .language:       OpenCL C
    .language_version:
      - 2
      - 0
    .max_flat_workgroup_size: 60
    .name:           fft_rtc_fwd_len200_factors_10_10_2_wgs_60_tpt_20_halfLds_sp_op_CI_CI_unitstride_sbrr_C2R_dirReg
    .private_segment_fixed_size: 0
    .sgpr_count:     34
    .sgpr_spill_count: 0
    .symbol:         fft_rtc_fwd_len200_factors_10_10_2_wgs_60_tpt_20_halfLds_sp_op_CI_CI_unitstride_sbrr_C2R_dirReg.kd
    .uniform_work_group_size: 1
    .uses_dynamic_stack: false
    .vgpr_count:     67
    .vgpr_spill_count: 0
    .wavefront_size: 64
amdhsa.target:   amdgcn-amd-amdhsa--gfx950
amdhsa.version:
  - 1
  - 2
...

	.end_amdgpu_metadata
